;; amdgpu-corpus repo=ROCm/rocFFT kind=compiled arch=gfx950 opt=O3
	.text
	.amdgcn_target "amdgcn-amd-amdhsa--gfx950"
	.amdhsa_code_object_version 6
	.protected	bluestein_single_fwd_len50_dim1_dp_op_CI_CI ; -- Begin function bluestein_single_fwd_len50_dim1_dp_op_CI_CI
	.globl	bluestein_single_fwd_len50_dim1_dp_op_CI_CI
	.p2align	8
	.type	bluestein_single_fwd_len50_dim1_dp_op_CI_CI,@function
bluestein_single_fwd_len50_dim1_dp_op_CI_CI: ; @bluestein_single_fwd_len50_dim1_dp_op_CI_CI
; %bb.0:
	s_load_dwordx4 s[8:11], s[0:1], 0x28
	v_mul_u32_u24_e32 v1, 0x199a, v0
	v_lshrrev_b32_e32 v2, 16, v1
	v_mad_u64_u32 v[56:57], s[2:3], s2, 25, v[2:3]
	v_mov_b32_e32 v57, 0
	s_waitcnt lgkmcnt(0)
	v_cmp_gt_u64_e32 vcc, s[8:9], v[56:57]
	s_and_saveexec_b64 s[2:3], vcc
	s_cbranch_execz .LBB0_15
; %bb.1:
	v_mul_lo_u16_e32 v1, 10, v2
	s_mov_b32 s2, 0x51eb851f
	v_sub_u16_e32 v66, v0, v1
	v_mul_hi_u32 v0, v56, s2
	s_load_dwordx2 s[8:9], s[0:1], 0x0
	s_load_dwordx2 s[12:13], s[0:1], 0x38
	v_lshrrev_b32_e32 v0, 3, v0
	v_mul_lo_u32 v0, v0, 25
	v_sub_u32_e32 v0, v56, v0
	v_mul_u32_u24_e32 v68, 50, v0
	v_cmp_gt_u16_e32 vcc, 5, v66
	v_lshlrev_b32_e32 v67, 4, v66
	v_lshlrev_b32_e32 v69, 4, v68
	v_or_b32_e32 v57, 40, v66
	s_and_saveexec_b64 s[2:3], vcc
	s_cbranch_execz .LBB0_3
; %bb.2:
	s_load_dwordx2 s[4:5], s[0:1], 0x18
	v_mov_b32_e32 v0, s10
	v_mov_b32_e32 v1, s11
	;; [unrolled: 1-line block ×3, first 2 shown]
	s_waitcnt lgkmcnt(0)
	s_load_dwordx4 s[4:7], s[4:5], 0x0
	s_waitcnt lgkmcnt(0)
	v_mad_u64_u32 v[2:3], s[10:11], s6, v56, 0
	v_mad_u64_u32 v[4:5], s[10:11], s4, v66, 0
	v_mov_b32_e32 v6, v3
	v_mov_b32_e32 v8, v5
	v_mad_u64_u32 v[6:7], s[6:7], s7, v56, v[6:7]
	v_mov_b32_e32 v3, v6
	v_mad_u64_u32 v[6:7], s[6:7], s5, v66, v[8:9]
	v_mov_b32_e32 v5, v6
	v_lshl_add_u64 v[24:25], v[2:3], 4, v[0:1]
	v_lshl_add_u64 v[4:5], v[4:5], 4, v[24:25]
	v_mad_u64_u32 v[30:31], s[6:7], s4, v72, v[4:5]
	s_mul_i32 s6, s5, 0x50
	s_nop 0
	v_add_u32_e32 v31, s6, v31
	v_mad_u64_u32 v[32:33], s[10:11], s4, v72, v[30:31]
	global_load_dwordx4 v[0:3], v[4:5], off
	v_add_u32_e32 v33, s6, v33
	global_load_dwordx4 v[4:7], v67, s[8:9]
	global_load_dwordx4 v[8:11], v67, s[8:9] offset:80
	v_mad_u64_u32 v[42:43], s[10:11], s4, v72, v[32:33]
	v_add_u32_e32 v43, s6, v43
	global_load_dwordx4 v[16:19], v[30:31], off
	global_load_dwordx4 v[12:15], v[32:33], off
	global_load_dwordx4 v[20:23], v67, s[8:9] offset:160
	global_load_dwordx4 v[26:29], v67, s[8:9] offset:240
	s_nop 0
	global_load_dwordx4 v[30:33], v67, s[8:9] offset:320
	global_load_dwordx4 v[34:37], v67, s[8:9] offset:400
	v_mad_u64_u32 v[54:55], s[10:11], s4, v57, 0
	global_load_dwordx4 v[38:41], v[42:43], off
	v_mad_u64_u32 v[48:49], s[10:11], s4, v72, v[42:43]
	v_mov_b32_e32 v44, v55
	v_add_u32_e32 v49, s6, v49
	v_mad_u64_u32 v[46:47], s[10:11], s5, v57, v[44:45]
	global_load_dwordx4 v[42:45], v[48:49], off
	v_mad_u64_u32 v[50:51], s[10:11], s4, v72, v[48:49]
	v_add_u32_e32 v51, s6, v51
	v_mov_b32_e32 v55, v46
	global_load_dwordx4 v[46:49], v[50:51], off
	v_mad_u64_u32 v[70:71], s[10:11], s4, v72, v[50:51]
	v_add_u32_e32 v71, s6, v71
	v_mad_u64_u32 v[86:87], s[10:11], s4, v72, v[70:71]
	global_load_dwordx4 v[50:53], v[70:71], off
	global_load_dwordx4 v[58:61], v67, s[8:9] offset:480
	global_load_dwordx4 v[62:65], v67, s[8:9] offset:560
	v_add_u32_e32 v87, s6, v87
	global_load_dwordx4 v[70:73], v[86:87], off
	v_lshl_add_u64 v[24:25], v[54:55], 4, v[24:25]
	global_load_dwordx4 v[74:77], v[24:25], off
	v_mov_b32_e32 v24, 0xa0
	s_mul_i32 s6, s5, 0xa0
	v_mad_u64_u32 v[24:25], s[4:5], s4, v24, v[86:87]
	global_load_dwordx4 v[78:81], v67, s[8:9] offset:640
	global_load_dwordx4 v[82:85], v67, s[8:9] offset:720
	v_add_u32_e32 v25, s6, v25
	global_load_dwordx4 v[86:89], v[24:25], off
	v_lshl_add_u32 v54, v66, 4, v69
	v_add_u32_e32 v55, v69, v67
	s_waitcnt vmcnt(18)
	v_mul_f64 v[24:25], v[0:1], v[6:7]
	v_mul_f64 v[90:91], v[2:3], v[6:7]
	v_fma_f64 v[92:93], v[2:3], v[4:5], -v[24:25]
	v_fmac_f64_e32 v[90:91], v[0:1], v[4:5]
	s_waitcnt vmcnt(16)
	v_mul_f64 v[0:1], v[18:19], v[10:11]
	v_mul_f64 v[2:3], v[16:17], v[10:11]
	v_fmac_f64_e32 v[0:1], v[16:17], v[8:9]
	v_fma_f64 v[2:3], v[18:19], v[8:9], -v[2:3]
	ds_write_b128 v54, v[90:93]
	ds_write_b128 v55, v[0:3] offset:80
	s_waitcnt vmcnt(10)
	v_mul_f64 v[0:1], v[40:41], v[28:29]
	v_mul_f64 v[2:3], v[38:39], v[28:29]
	v_fmac_f64_e32 v[0:1], v[38:39], v[26:27]
	v_fma_f64 v[2:3], v[40:41], v[26:27], -v[2:3]
	ds_write_b128 v55, v[0:3] offset:240
	v_mul_f64 v[6:7], v[12:13], v[22:23]
	s_waitcnt vmcnt(9)
	v_mul_f64 v[2:3], v[42:43], v[32:33]
	v_mul_f64 v[0:1], v[44:45], v[32:33]
	v_fma_f64 v[2:3], v[44:45], v[30:31], -v[2:3]
	v_fmac_f64_e32 v[0:1], v[42:43], v[30:31]
	ds_write_b128 v55, v[0:3] offset:320
	s_waitcnt vmcnt(8)
	v_mul_f64 v[0:1], v[48:49], v[36:37]
	v_mul_f64 v[2:3], v[46:47], v[36:37]
	v_fmac_f64_e32 v[0:1], v[46:47], v[34:35]
	v_fma_f64 v[2:3], v[48:49], v[34:35], -v[2:3]
	ds_write_b128 v55, v[0:3] offset:400
	s_waitcnt vmcnt(6)
	v_mul_f64 v[0:1], v[52:53], v[60:61]
	v_mul_f64 v[2:3], v[50:51], v[60:61]
	v_fmac_f64_e32 v[0:1], v[50:51], v[58:59]
	v_fma_f64 v[2:3], v[52:53], v[58:59], -v[2:3]
	;; [unrolled: 6-line block ×4, first 2 shown]
	v_mul_f64 v[4:5], v[14:15], v[22:23]
	ds_write_b128 v55, v[0:3] offset:640
	s_waitcnt vmcnt(0)
	v_mul_f64 v[0:1], v[88:89], v[84:85]
	v_mul_f64 v[2:3], v[86:87], v[84:85]
	v_fma_f64 v[6:7], v[14:15], v[20:21], -v[6:7]
	v_fmac_f64_e32 v[4:5], v[12:13], v[20:21]
	v_fmac_f64_e32 v[0:1], v[86:87], v[82:83]
	v_fma_f64 v[2:3], v[88:89], v[82:83], -v[2:3]
	ds_write_b128 v55, v[4:7] offset:160
	ds_write_b128 v55, v[0:3] offset:720
.LBB0_3:
	s_or_b64 exec, exec, s[2:3]
	s_load_dwordx2 s[2:3], s[0:1], 0x20
	s_load_dwordx2 s[14:15], s[0:1], 0x8
	s_waitcnt lgkmcnt(0)
	s_barrier
	s_waitcnt lgkmcnt(0)
                                        ; implicit-def: $vgpr6_vgpr7
                                        ; implicit-def: $vgpr2_vgpr3
                                        ; implicit-def: $vgpr24_vgpr25
                                        ; implicit-def: $vgpr8_vgpr9
                                        ; implicit-def: $vgpr28_vgpr29
                                        ; implicit-def: $vgpr12_vgpr13
                                        ; implicit-def: $vgpr32_vgpr33
                                        ; implicit-def: $vgpr16_vgpr17
                                        ; implicit-def: $vgpr36_vgpr37
                                        ; implicit-def: $vgpr20_vgpr21
	s_and_saveexec_b64 s[0:1], vcc
	s_cbranch_execz .LBB0_5
; %bb.4:
	v_lshl_add_u32 v20, v68, 4, v67
	ds_read_b128 v[0:3], v20
	ds_read_b128 v[4:7], v20 offset:80
	ds_read_b128 v[24:27], v20 offset:160
	;; [unrolled: 1-line block ×9, first 2 shown]
.LBB0_5:
	s_or_b64 exec, exec, s[0:1]
	s_waitcnt lgkmcnt(3)
	v_add_f64 v[40:41], v[28:29], v[32:33]
	s_mov_b32 s10, 0x134454ff
	v_fma_f64 v[42:43], -0.5, v[40:41], v[0:1]
	s_waitcnt lgkmcnt(1)
	v_add_f64 v[46:47], v[26:27], -v[38:39]
	s_mov_b32 s11, 0x3fee6f0e
	s_mov_b32 s4, 0x4755a5e
	;; [unrolled: 1-line block ×4, first 2 shown]
	v_fma_f64 v[40:41], s[10:11], v[46:47], v[42:43]
	v_add_f64 v[48:49], v[30:31], -v[34:35]
	s_mov_b32 s5, 0x3fe2cf23
	v_add_f64 v[44:45], v[24:25], -v[28:29]
	v_add_f64 v[52:53], v[36:37], -v[32:33]
	s_mov_b32 s6, 0x372fe950
	v_fmac_f64_e32 v[42:43], s[18:19], v[46:47]
	s_mov_b32 s17, 0xbfe2cf23
	s_mov_b32 s16, s4
	v_fmac_f64_e32 v[40:41], s[4:5], v[48:49]
	v_add_f64 v[44:45], v[44:45], v[52:53]
	s_mov_b32 s7, 0x3fd3c6ef
	v_fmac_f64_e32 v[42:43], s[16:17], v[48:49]
	v_fmac_f64_e32 v[40:41], s[6:7], v[44:45]
	;; [unrolled: 1-line block ×3, first 2 shown]
	v_add_f64 v[44:45], v[24:25], v[36:37]
	v_add_f64 v[50:51], v[0:1], v[24:25]
	v_fmac_f64_e32 v[0:1], -0.5, v[44:45]
	v_fma_f64 v[44:45], s[18:19], v[48:49], v[0:1]
	v_add_f64 v[52:53], v[28:29], -v[24:25]
	v_add_f64 v[54:55], v[32:33], -v[36:37]
	v_fmac_f64_e32 v[0:1], s[10:11], v[48:49]
	v_fmac_f64_e32 v[44:45], s[4:5], v[46:47]
	v_add_f64 v[52:53], v[52:53], v[54:55]
	v_fmac_f64_e32 v[0:1], s[16:17], v[46:47]
	v_add_f64 v[46:47], v[30:31], v[34:35]
	v_fmac_f64_e32 v[44:45], s[6:7], v[52:53]
	v_fmac_f64_e32 v[0:1], s[6:7], v[52:53]
	v_fma_f64 v[48:49], -0.5, v[46:47], v[2:3]
	v_add_f64 v[24:25], v[24:25], -v[36:37]
	v_add_f64 v[52:53], v[26:27], -v[30:31]
	;; [unrolled: 1-line block ×3, first 2 shown]
	v_fma_f64 v[46:47], s[18:19], v[24:25], v[48:49]
	v_add_f64 v[52:53], v[52:53], v[54:55]
	v_add_f64 v[54:55], v[28:29], -v[32:33]
	v_fmac_f64_e32 v[48:49], s[10:11], v[24:25]
	v_fmac_f64_e32 v[46:47], s[16:17], v[54:55]
	;; [unrolled: 1-line block ×3, first 2 shown]
	v_add_f64 v[28:29], v[50:51], v[28:29]
	v_fmac_f64_e32 v[46:47], s[6:7], v[52:53]
	v_fmac_f64_e32 v[48:49], s[6:7], v[52:53]
	v_add_f64 v[52:53], v[2:3], v[26:27]
	v_add_f64 v[28:29], v[28:29], v[32:33]
	;; [unrolled: 1-line block ×5, first 2 shown]
	v_fmac_f64_e32 v[2:3], -0.5, v[58:59]
	v_add_f64 v[28:29], v[28:29], v[34:35]
	v_add_f64 v[50:51], v[28:29], v[38:39]
	v_add_f64 v[26:27], v[30:31], -v[26:27]
	v_fma_f64 v[52:53], s[10:11], v[54:55], v[2:3]
	v_add_f64 v[28:29], v[34:35], -v[38:39]
	v_fmac_f64_e32 v[2:3], s[18:19], v[54:55]
	v_fmac_f64_e32 v[52:53], s[16:17], v[24:25]
	v_add_f64 v[26:27], v[26:27], v[28:29]
	v_fmac_f64_e32 v[2:3], s[4:5], v[24:25]
	v_fmac_f64_e32 v[52:53], s[6:7], v[26:27]
	;; [unrolled: 1-line block ×3, first 2 shown]
	v_add_f64 v[26:27], v[12:13], v[16:17]
	v_fma_f64 v[26:27], -0.5, v[26:27], v[4:5]
	s_waitcnt lgkmcnt(0)
	v_add_f64 v[28:29], v[10:11], -v[22:23]
	v_fma_f64 v[30:31], s[10:11], v[28:29], v[26:27]
	v_add_f64 v[32:33], v[14:15], -v[18:19]
	v_add_f64 v[34:35], v[8:9], -v[12:13]
	;; [unrolled: 1-line block ×3, first 2 shown]
	v_fmac_f64_e32 v[26:27], s[18:19], v[28:29]
	v_fmac_f64_e32 v[30:31], s[4:5], v[32:33]
	v_add_f64 v[34:35], v[34:35], v[38:39]
	v_fmac_f64_e32 v[26:27], s[16:17], v[32:33]
	v_fmac_f64_e32 v[30:31], s[6:7], v[34:35]
	;; [unrolled: 1-line block ×3, first 2 shown]
	v_add_f64 v[34:35], v[8:9], v[20:21]
	v_add_f64 v[24:25], v[4:5], v[8:9]
	v_fmac_f64_e32 v[4:5], -0.5, v[34:35]
	v_fma_f64 v[34:35], s[18:19], v[32:33], v[4:5]
	v_add_f64 v[38:39], v[12:13], -v[8:9]
	v_add_f64 v[54:55], v[16:17], -v[20:21]
	v_fmac_f64_e32 v[4:5], s[10:11], v[32:33]
	v_fmac_f64_e32 v[34:35], s[4:5], v[28:29]
	v_add_f64 v[38:39], v[38:39], v[54:55]
	v_fmac_f64_e32 v[4:5], s[16:17], v[28:29]
	v_add_f64 v[28:29], v[14:15], v[18:19]
	v_fmac_f64_e32 v[34:35], s[6:7], v[38:39]
	v_fmac_f64_e32 v[4:5], s[6:7], v[38:39]
	v_fma_f64 v[28:29], -0.5, v[28:29], v[6:7]
	v_add_f64 v[32:33], v[8:9], -v[20:21]
	v_add_f64 v[8:9], v[10:11], -v[14:15]
	;; [unrolled: 1-line block ×3, first 2 shown]
	v_fma_f64 v[60:61], s[18:19], v[32:33], v[28:29]
	v_add_f64 v[8:9], v[8:9], v[38:39]
	v_add_f64 v[38:39], v[12:13], -v[16:17]
	v_fmac_f64_e32 v[28:29], s[10:11], v[32:33]
	v_fmac_f64_e32 v[60:61], s[16:17], v[38:39]
	;; [unrolled: 1-line block ×5, first 2 shown]
	v_add_f64 v[8:9], v[10:11], v[22:23]
	v_add_f64 v[54:55], v[6:7], v[10:11]
	v_fmac_f64_e32 v[6:7], -0.5, v[8:9]
	v_add_f64 v[8:9], v[24:25], v[12:13]
	v_add_f64 v[8:9], v[8:9], v[16:17]
	;; [unrolled: 1-line block ×3, first 2 shown]
	v_add_f64 v[10:11], v[14:15], -v[10:11]
	v_fma_f64 v[16:17], s[10:11], v[38:39], v[6:7]
	v_add_f64 v[14:15], v[18:19], -v[22:23]
	v_fmac_f64_e32 v[6:7], s[18:19], v[38:39]
	v_add_f64 v[10:11], v[10:11], v[14:15]
	v_fmac_f64_e32 v[6:7], s[4:5], v[32:33]
	s_mov_b32 s0, 0x9b97f4a8
	v_add_f64 v[12:13], v[12:13], v[18:19]
	v_fmac_f64_e32 v[16:17], s[16:17], v[32:33]
	v_fmac_f64_e32 v[6:7], s[6:7], v[10:11]
	s_mov_b32 s1, 0x3fe9e377
	v_mul_f64 v[18:19], v[4:5], s[6:7]
	v_fmac_f64_e32 v[16:17], s[6:7], v[10:11]
	v_mul_f64 v[10:11], v[30:31], s[0:1]
	v_fma_f64 v[38:39], v[6:7], s[10:11], -v[18:19]
	v_mul_f64 v[58:59], v[30:31], s[16:17]
	v_mul_f64 v[6:7], v[6:7], s[6:7]
	v_fmac_f64_e32 v[10:11], s[4:5], v[60:61]
	v_mul_f64 v[14:15], v[16:17], s[10:11]
	v_mul_f64 v[18:19], v[26:27], s[0:1]
	v_fmac_f64_e32 v[58:59], s[0:1], v[60:61]
	v_mul_f64 v[60:61], v[34:35], s[18:19]
	v_fma_f64 v[4:5], v[4:5], s[18:19], -v[6:7]
	v_mul_f64 v[6:7], v[28:29], s[0:1]
	v_add_f64 v[8:9], v[8:9], v[20:21]
	v_add_f64 v[12:13], v[12:13], v[22:23]
	v_fmac_f64_e32 v[14:15], s[6:7], v[34:35]
	v_fma_f64 v[54:55], v[28:29], s[4:5], -v[18:19]
	v_fmac_f64_e32 v[60:61], s[6:7], v[16:17]
	v_fma_f64 v[6:7], v[26:27], s[16:17], -v[6:7]
	v_add_f64 v[16:17], v[36:37], -v[8:9]
	v_add_f64 v[20:21], v[40:41], -v[10:11]
	;; [unrolled: 1-line block ×10, first 2 shown]
	v_mul_lo_u16_e32 v71, 10, v66
	s_barrier
	s_and_saveexec_b64 s[0:1], vcc
	s_cbranch_execz .LBB0_7
; %bb.6:
	v_add_f64 v[12:13], v[50:51], v[12:13]
	v_add_f64 v[50:51], v[40:41], v[10:11]
	;; [unrolled: 1-line block ×3, first 2 shown]
	v_add_lshl_u32 v8, v68, v71, 4
	v_add_f64 v[6:7], v[48:49], v[6:7]
	v_add_f64 v[2:3], v[2:3], v[4:5]
	;; [unrolled: 1-line block ×7, first 2 shown]
	ds_write_b128 v8, v[10:13]
	ds_write_b128 v8, v[50:53] offset:16
	ds_write_b128 v8, v[46:49] offset:32
	;; [unrolled: 1-line block ×9, first 2 shown]
.LBB0_7:
	s_or_b64 exec, exec, s[0:1]
	v_lshlrev_b32_e32 v36, 6, v66
	s_load_dwordx4 s[0:3], s[2:3], 0x0
	s_waitcnt lgkmcnt(0)
	s_barrier
	global_load_dwordx4 v[12:15], v36, s[14:15]
	global_load_dwordx4 v[8:11], v36, s[14:15] offset:16
	global_load_dwordx4 v[4:7], v36, s[14:15] offset:32
	;; [unrolled: 1-line block ×3, first 2 shown]
	v_add_lshl_u32 v72, v68, v66, 4
	ds_read_b128 v[36:39], v72
	ds_read_b128 v[40:43], v72 offset:160
	ds_read_b128 v[44:47], v72 offset:320
	;; [unrolled: 1-line block ×4, first 2 shown]
	v_lshl_add_u32 v70, v66, 4, v69
	s_waitcnt vmcnt(3) lgkmcnt(3)
	v_mul_f64 v[58:59], v[42:43], v[14:15]
	v_mul_f64 v[60:61], v[40:41], v[14:15]
	s_waitcnt vmcnt(2) lgkmcnt(2)
	v_mul_f64 v[62:63], v[46:47], v[10:11]
	v_mul_f64 v[64:65], v[44:45], v[10:11]
	;; [unrolled: 3-line block ×4, first 2 shown]
	v_fma_f64 v[40:41], v[40:41], v[12:13], -v[58:59]
	v_fmac_f64_e32 v[60:61], v[42:43], v[12:13]
	v_fma_f64 v[42:43], v[44:45], v[8:9], -v[62:63]
	v_fmac_f64_e32 v[64:65], v[46:47], v[8:9]
	;; [unrolled: 2-line block ×4, first 2 shown]
	v_add_f64 v[44:45], v[36:37], v[40:41]
	v_add_f64 v[46:47], v[42:43], v[48:49]
	v_add_f64 v[52:53], v[40:41], -v[42:43]
	v_add_f64 v[54:55], v[50:51], -v[48:49]
	v_add_f64 v[74:75], v[40:41], v[50:51]
	v_add_f64 v[84:85], v[38:39], v[60:61]
	;; [unrolled: 1-line block ×4, first 2 shown]
	v_add_f64 v[58:59], v[60:61], -v[80:81]
	v_add_f64 v[62:63], v[64:65], -v[76:77]
	;; [unrolled: 1-line block ×7, first 2 shown]
	v_add_f64 v[42:43], v[44:45], v[42:43]
	v_add_f64 v[98:99], v[52:53], v[54:55]
	v_fma_f64 v[44:45], -0.5, v[46:47], v[36:37]
	v_fmac_f64_e32 v[36:37], -0.5, v[74:75]
	v_add_f64 v[54:55], v[84:85], v[64:65]
	v_fma_f64 v[46:47], -0.5, v[86:87], v[38:39]
	v_fmac_f64_e32 v[38:39], -0.5, v[94:95]
	v_add_f64 v[82:83], v[48:49], -v[50:51]
	v_add_f64 v[60:61], v[64:65], -v[60:61]
	v_add_f64 v[96:97], v[76:77], -v[80:81]
	v_add_f64 v[64:65], v[40:41], v[92:93]
	v_add_f64 v[48:49], v[42:43], v[48:49]
	v_fma_f64 v[40:41], s[10:11], v[58:59], v[44:45]
	v_fmac_f64_e32 v[44:45], s[18:19], v[58:59]
	v_fma_f64 v[52:53], s[18:19], v[62:63], v[36:37]
	v_fmac_f64_e32 v[36:37], s[10:11], v[62:63]
	v_add_f64 v[76:77], v[54:55], v[76:77]
	v_fma_f64 v[42:43], s[18:19], v[88:89], v[46:47]
	v_fmac_f64_e32 v[46:47], s[10:11], v[88:89]
	v_fma_f64 v[54:55], s[10:11], v[90:91], v[38:39]
	v_fmac_f64_e32 v[38:39], s[18:19], v[90:91]
	v_add_f64 v[74:75], v[78:79], v[82:83]
	v_add_f64 v[60:61], v[60:61], v[96:97]
	v_fmac_f64_e32 v[40:41], s[4:5], v[62:63]
	v_fmac_f64_e32 v[44:45], s[16:17], v[62:63]
	v_fmac_f64_e32 v[52:53], s[4:5], v[58:59]
	v_fmac_f64_e32 v[36:37], s[16:17], v[58:59]
	v_fmac_f64_e32 v[42:43], s[16:17], v[90:91]
	v_fmac_f64_e32 v[46:47], s[4:5], v[90:91]
	v_fmac_f64_e32 v[54:55], s[16:17], v[88:89]
	v_fmac_f64_e32 v[38:39], s[4:5], v[88:89]
	v_add_f64 v[48:49], v[48:49], v[50:51]
	v_add_f64 v[50:51], v[76:77], v[80:81]
	v_fmac_f64_e32 v[40:41], s[6:7], v[98:99]
	v_fmac_f64_e32 v[44:45], s[6:7], v[98:99]
	;; [unrolled: 1-line block ×8, first 2 shown]
	ds_write_b128 v70, v[48:51]
	ds_write_b128 v70, v[40:43] offset:160
	ds_write_b128 v70, v[52:55] offset:320
	;; [unrolled: 1-line block ×4, first 2 shown]
	s_waitcnt lgkmcnt(0)
	s_barrier
	s_and_saveexec_b64 s[4:5], vcc
	s_cbranch_execz .LBB0_9
; %bb.8:
	global_load_dwordx4 v[62:65], v67, s[8:9] offset:800
	ds_read_b128 v[58:61], v70
	s_add_u32 s6, s8, 0x320
	s_addc_u32 s7, s9, 0
	s_waitcnt vmcnt(0) lgkmcnt(0)
	v_mul_f64 v[74:75], v[60:61], v[64:65]
	v_mul_f64 v[76:77], v[58:59], v[64:65]
	v_fma_f64 v[74:75], v[58:59], v[62:63], -v[74:75]
	v_fmac_f64_e32 v[76:77], v[60:61], v[62:63]
	global_load_dwordx4 v[62:65], v67, s[6:7] offset:80
	ds_read_b128 v[58:61], v70 offset:80
	ds_write_b128 v70, v[74:77]
	s_waitcnt vmcnt(0) lgkmcnt(1)
	v_mul_f64 v[74:75], v[60:61], v[64:65]
	v_mul_f64 v[76:77], v[58:59], v[64:65]
	v_fma_f64 v[74:75], v[58:59], v[62:63], -v[74:75]
	v_fmac_f64_e32 v[76:77], v[60:61], v[62:63]
	global_load_dwordx4 v[62:65], v67, s[6:7] offset:160
	ds_read_b128 v[58:61], v70 offset:160
	ds_write_b128 v70, v[74:77] offset:80
	s_waitcnt vmcnt(0) lgkmcnt(1)
	v_mul_f64 v[74:75], v[60:61], v[64:65]
	v_mul_f64 v[76:77], v[58:59], v[64:65]
	v_fma_f64 v[74:75], v[58:59], v[62:63], -v[74:75]
	v_fmac_f64_e32 v[76:77], v[60:61], v[62:63]
	global_load_dwordx4 v[62:65], v67, s[6:7] offset:240
	ds_read_b128 v[58:61], v70 offset:240
	ds_write_b128 v70, v[74:77] offset:160
	;; [unrolled: 8-line block ×8, first 2 shown]
	s_waitcnt vmcnt(0) lgkmcnt(1)
	v_mul_f64 v[74:75], v[60:61], v[64:65]
	v_mul_f64 v[76:77], v[58:59], v[64:65]
	v_fma_f64 v[74:75], v[58:59], v[62:63], -v[74:75]
	v_fmac_f64_e32 v[76:77], v[60:61], v[62:63]
	ds_write_b128 v70, v[74:77] offset:720
.LBB0_9:
	s_or_b64 exec, exec, s[4:5]
	s_waitcnt lgkmcnt(0)
	s_barrier
	s_and_saveexec_b64 s[4:5], vcc
	s_cbranch_execz .LBB0_11
; %bb.10:
	ds_read_b128 v[48:51], v70
	ds_read_b128 v[40:43], v70 offset:80
	ds_read_b128 v[52:55], v70 offset:160
	;; [unrolled: 1-line block ×9, first 2 shown]
.LBB0_11:
	s_or_b64 exec, exec, s[4:5]
	s_waitcnt lgkmcnt(0)
	s_barrier
	s_and_saveexec_b64 s[4:5], vcc
	s_cbranch_execz .LBB0_13
; %bb.12:
	v_add_f64 v[62:63], v[36:37], -v[16:17]
	v_add_f64 v[64:65], v[32:33], -v[24:25]
	v_add_f64 v[80:81], v[62:63], v[64:65]
	v_add_f64 v[64:65], v[38:39], -v[18:19]
	v_add_f64 v[88:89], v[34:35], -v[26:27]
	v_add_f64 v[88:89], v[64:65], v[88:89]
	v_add_f64 v[64:65], v[18:19], v[26:27]
	v_fma_f64 v[90:91], -0.5, v[64:65], v[42:43]
	v_add_f64 v[64:65], v[46:47], -v[54:55]
	v_add_f64 v[96:97], v[22:23], -v[30:31]
	s_mov_b32 s10, 0x134454ff
	v_add_f64 v[96:97], v[64:65], v[96:97]
	v_add_f64 v[64:65], v[54:55], v[30:31]
	s_mov_b32 s11, 0xbfee6f0e
	v_add_f64 v[78:79], v[44:45], -v[20:21]
	s_mov_b32 s6, 0x4755a5e
	s_mov_b32 s19, 0x3fee6f0e
	;; [unrolled: 1-line block ×3, first 2 shown]
	v_fma_f64 v[64:65], -0.5, v[64:65], v[50:51]
	v_add_f64 v[100:101], v[16:17], -v[36:37]
	v_add_f64 v[102:103], v[24:25], -v[32:33]
	;; [unrolled: 1-line block ×3, first 2 shown]
	s_mov_b32 s7, 0xbfe2cf23
	s_mov_b32 s14, 0x372fe950
	;; [unrolled: 1-line block ×4, first 2 shown]
	v_fma_f64 v[98:99], s[18:19], v[78:79], v[64:65]
	v_add_f64 v[100:101], v[100:101], v[102:103]
	v_add_f64 v[102:103], v[36:37], v[32:33]
	v_fmac_f64_e32 v[64:65], s[10:11], v[78:79]
	s_mov_b32 s15, 0x3fd3c6ef
	v_add_f64 v[86:87], v[18:19], -v[26:27]
	v_fmac_f64_e32 v[98:99], s[6:7], v[76:77]
	v_fma_f64 v[102:103], -0.5, v[102:103], v[40:41]
	v_add_f64 v[104:105], v[18:19], -v[38:39]
	v_add_f64 v[106:107], v[26:27], -v[34:35]
	v_fmac_f64_e32 v[64:65], s[16:17], v[76:77]
	v_add_f64 v[58:59], v[54:55], -v[46:47]
	v_add_f64 v[60:61], v[30:31], -v[22:23]
	;; [unrolled: 1-line block ×3, first 2 shown]
	v_fmac_f64_e32 v[98:99], s[14:15], v[96:97]
	v_add_f64 v[104:105], v[104:105], v[106:107]
	v_fma_f64 v[106:107], s[10:11], v[86:87], v[102:103]
	v_fmac_f64_e32 v[64:65], s[14:15], v[96:97]
	v_add_f64 v[96:97], v[38:39], v[34:35]
	v_fmac_f64_e32 v[102:103], s[18:19], v[86:87]
	v_add_f64 v[74:75], v[58:59], v[60:61]
	v_add_f64 v[58:59], v[46:47], v[22:23]
	v_add_f64 v[94:95], v[16:17], -v[24:25]
	v_fmac_f64_e32 v[106:107], s[16:17], v[82:83]
	v_fma_f64 v[96:97], -0.5, v[96:97], v[42:43]
	v_fmac_f64_e32 v[102:103], s[6:7], v[82:83]
	v_fma_f64 v[58:59], -0.5, v[58:59], v[50:51]
	v_add_f64 v[92:93], v[36:37], -v[32:33]
	v_fmac_f64_e32 v[106:107], s[14:15], v[100:101]
	v_fmac_f64_e32 v[102:103], s[14:15], v[100:101]
	v_fma_f64 v[100:101], s[18:19], v[94:95], v[96:97]
	v_fmac_f64_e32 v[96:97], s[10:11], v[94:95]
	v_fma_f64 v[60:61], s[10:11], v[76:77], v[58:59]
	v_add_f64 v[62:63], v[16:17], v[24:25]
	v_fmac_f64_e32 v[100:101], s[6:7], v[92:93]
	v_fmac_f64_e32 v[96:97], s[16:17], v[92:93]
	;; [unrolled: 1-line block ×4, first 2 shown]
	v_fma_f64 v[62:63], -0.5, v[62:63], v[40:41]
	v_fmac_f64_e32 v[100:101], s[14:15], v[104:105]
	v_fmac_f64_e32 v[96:97], s[14:15], v[104:105]
	v_fma_f64 v[104:105], s[10:11], v[92:93], v[90:91]
	v_fmac_f64_e32 v[58:59], s[16:17], v[78:79]
	v_fmac_f64_e32 v[60:61], s[14:15], v[74:75]
	v_fma_f64 v[84:85], s[18:19], v[82:83], v[62:63]
	v_fmac_f64_e32 v[104:105], s[6:7], v[94:95]
	s_mov_b32 s20, 0x9b97f4a8
	v_fmac_f64_e32 v[58:59], s[14:15], v[74:75]
	v_fmac_f64_e32 v[90:91], s[18:19], v[92:93]
	v_add_f64 v[74:75], v[52:53], -v[44:45]
	v_add_f64 v[78:79], v[28:29], -v[20:21]
	v_fmac_f64_e32 v[84:85], s[16:17], v[86:87]
	v_fmac_f64_e32 v[104:105], s[14:15], v[88:89]
	s_mov_b32 s21, 0xbfe9e377
	v_fmac_f64_e32 v[62:63], s[10:11], v[82:83]
	v_fmac_f64_e32 v[90:91], s[16:17], v[94:95]
	v_add_f64 v[74:75], v[74:75], v[78:79]
	v_add_f64 v[78:79], v[44:45], v[20:21]
	v_fmac_f64_e32 v[84:85], s[14:15], v[80:81]
	v_mul_f64 v[108:109], v[104:105], s[20:21]
	v_fmac_f64_e32 v[62:63], s[6:7], v[86:87]
	v_fmac_f64_e32 v[90:91], s[14:15], v[88:89]
	v_fma_f64 v[86:87], -0.5, v[78:79], v[48:49]
	v_mul_f64 v[88:89], v[104:105], s[6:7]
	v_add_f64 v[78:79], v[52:53], v[28:29]
	v_fmac_f64_e32 v[108:109], s[16:17], v[84:85]
	v_add_f64 v[50:51], v[50:51], v[54:55]
	v_fmac_f64_e32 v[88:89], s[20:21], v[84:85]
	v_fma_f64 v[84:85], -0.5, v[78:79], v[48:49]
	v_add_f64 v[78:79], v[48:49], v[52:53]
	v_add_f64 v[48:49], v[54:55], -v[30:31]
	v_add_f64 v[52:53], v[44:45], -v[52:53]
	;; [unrolled: 1-line block ×3, first 2 shown]
	v_add_f64 v[52:53], v[52:53], v[54:55]
	v_add_f64 v[54:55], v[46:47], -v[22:23]
	v_fma_f64 v[94:95], s[10:11], v[54:55], v[84:85]
	v_fmac_f64_e32 v[84:85], s[18:19], v[54:55]
	v_fmac_f64_e32 v[94:95], s[16:17], v[48:49]
	v_fmac_f64_e32 v[84:85], s[6:7], v[48:49]
	v_add_f64 v[46:47], v[50:51], v[46:47]
	v_add_f64 v[50:51], v[78:79], v[44:45]
	v_fmac_f64_e32 v[94:95], s[14:15], v[52:53]
	v_fmac_f64_e32 v[84:85], s[14:15], v[52:53]
	v_mul_f64 v[52:53], v[96:97], s[14:15]
	v_mul_f64 v[96:97], v[96:97], s[10:11]
	v_add_f64 v[22:23], v[46:47], v[22:23]
	v_add_f64 v[20:21], v[50:51], v[20:21]
	s_mov_b32 s23, 0xbfd3c6ef
	s_mov_b32 s22, s14
	v_fmac_f64_e32 v[52:53], s[18:19], v[102:103]
	v_fmac_f64_e32 v[96:97], s[14:15], v[102:103]
	v_add_f64 v[102:103], v[22:23], v[30:31]
	v_add_f64 v[22:23], v[42:43], v[38:39]
	v_add_f64 v[50:51], v[20:21], v[28:29]
	v_add_f64 v[20:21], v[40:41], v[36:37]
	v_mul_f64 v[82:83], v[100:101], s[22:23]
	v_fmac_f64_e32 v[62:63], s[14:15], v[80:81]
	v_mul_f64 v[92:93], v[100:101], s[10:11]
	v_fma_f64 v[100:101], s[18:19], v[48:49], v[86:87]
	v_fmac_f64_e32 v[86:87], s[10:11], v[48:49]
	v_add_f64 v[18:19], v[22:23], v[18:19]
	v_add_f64 v[16:17], v[20:21], v[16:17]
	v_fmac_f64_e32 v[100:101], s[16:17], v[54:55]
	v_fmac_f64_e32 v[86:87], s[6:7], v[54:55]
	v_mul_f64 v[54:55], v[62:63], s[16:17]
	s_mov_b32 s21, 0x3fe9e377
	v_add_f64 v[18:19], v[18:19], v[26:27]
	v_add_f64 v[16:17], v[16:17], v[24:25]
	v_fmac_f64_e32 v[54:55], s[20:21], v[90:91]
	v_mul_f64 v[90:91], v[90:91], s[6:7]
	v_add_f64 v[38:39], v[18:19], v[34:35]
	v_add_f64 v[36:37], v[16:17], v[32:33]
	v_fmac_f64_e32 v[82:83], s[18:19], v[106:107]
	v_fmac_f64_e32 v[92:93], s[22:23], v[106:107]
	;; [unrolled: 1-line block ×5, first 2 shown]
	v_add_f64 v[18:19], v[102:103], -v[38:39]
	v_add_f64 v[16:17], v[50:51], -v[36:37]
	v_add_f64 v[38:39], v[102:103], v[38:39]
	v_add_f64 v[36:37], v[50:51], v[36:37]
	v_lshl_add_u32 v40, v71, 4, v69
	v_add_f64 v[76:77], v[60:61], -v[108:109]
	v_add_f64 v[80:81], v[98:99], -v[82:83]
	;; [unrolled: 1-line block ×8, first 2 shown]
	v_add_f64 v[22:23], v[60:61], v[108:109]
	v_add_f64 v[26:27], v[98:99], v[82:83]
	;; [unrolled: 1-line block ×8, first 2 shown]
	ds_write_b128 v40, v[36:39]
	ds_write_b128 v40, v[32:35] offset:16
	ds_write_b128 v40, v[28:31] offset:32
	ds_write_b128 v40, v[24:27] offset:48
	ds_write_b128 v40, v[20:23] offset:64
	ds_write_b128 v40, v[16:19] offset:80
	ds_write_b128 v40, v[42:45] offset:96
	ds_write_b128 v40, v[46:49] offset:112
	ds_write_b128 v40, v[78:81] offset:128
	ds_write_b128 v40, v[74:77] offset:144
.LBB0_13:
	s_or_b64 exec, exec, s[4:5]
	s_waitcnt lgkmcnt(0)
	s_barrier
	ds_read_b128 v[16:19], v72 offset:160
	ds_read_b128 v[20:23], v72
	ds_read_b128 v[24:27], v72 offset:320
	ds_read_b128 v[28:31], v72 offset:480
	;; [unrolled: 1-line block ×3, first 2 shown]
	s_waitcnt lgkmcnt(4)
	v_mul_f64 v[36:37], v[14:15], v[18:19]
	v_mul_f64 v[14:15], v[14:15], v[16:17]
	v_fmac_f64_e32 v[36:37], v[12:13], v[16:17]
	v_fma_f64 v[16:17], v[12:13], v[18:19], -v[14:15]
	s_waitcnt lgkmcnt(2)
	v_mul_f64 v[14:15], v[10:11], v[26:27]
	v_fmac_f64_e32 v[14:15], v[8:9], v[24:25]
	v_mul_f64 v[10:11], v[10:11], v[24:25]
	s_waitcnt lgkmcnt(1)
	v_mul_f64 v[24:25], v[6:7], v[30:31]
	v_fma_f64 v[18:19], v[8:9], v[26:27], -v[10:11]
	v_fmac_f64_e32 v[24:25], v[4:5], v[28:29]
	s_waitcnt lgkmcnt(0)
	v_mul_f64 v[10:11], v[2:3], v[34:35]
	v_mul_f64 v[2:3], v[2:3], v[32:33]
	;; [unrolled: 1-line block ×3, first 2 shown]
	v_fma_f64 v[28:29], v[0:1], v[34:35], -v[2:3]
	v_add_f64 v[2:3], v[14:15], v[24:25]
	s_mov_b32 s4, 0x134454ff
	v_fma_f64 v[26:27], v[4:5], v[30:31], -v[6:7]
	v_fmac_f64_e32 v[10:11], v[0:1], v[32:33]
	v_fma_f64 v[4:5], -0.5, v[2:3], v[20:21]
	v_add_f64 v[2:3], v[16:17], -v[28:29]
	s_mov_b32 s5, 0xbfee6f0e
	s_mov_b32 s6, 0x4755a5e
	;; [unrolled: 1-line block ×4, first 2 shown]
	v_fma_f64 v[8:9], s[4:5], v[2:3], v[4:5]
	v_add_f64 v[6:7], v[18:19], -v[26:27]
	s_mov_b32 s7, 0xbfe2cf23
	v_add_f64 v[12:13], v[36:37], -v[14:15]
	v_add_f64 v[30:31], v[10:11], -v[24:25]
	s_mov_b32 s10, 0x372fe950
	v_fmac_f64_e32 v[4:5], s[14:15], v[2:3]
	s_mov_b32 s17, 0x3fe2cf23
	s_mov_b32 s16, s6
	v_fmac_f64_e32 v[8:9], s[6:7], v[6:7]
	v_add_f64 v[12:13], v[12:13], v[30:31]
	s_mov_b32 s11, 0x3fd3c6ef
	v_fmac_f64_e32 v[4:5], s[16:17], v[6:7]
	v_fmac_f64_e32 v[8:9], s[10:11], v[12:13]
	;; [unrolled: 1-line block ×3, first 2 shown]
	v_add_f64 v[12:13], v[36:37], v[10:11]
	v_add_f64 v[0:1], v[20:21], v[36:37]
	v_fmac_f64_e32 v[20:21], -0.5, v[12:13]
	v_fma_f64 v[12:13], s[14:15], v[6:7], v[20:21]
	v_add_f64 v[30:31], v[14:15], -v[36:37]
	v_add_f64 v[32:33], v[24:25], -v[10:11]
	v_fmac_f64_e32 v[20:21], s[4:5], v[6:7]
	v_add_f64 v[0:1], v[0:1], v[14:15]
	v_fmac_f64_e32 v[12:13], s[6:7], v[2:3]
	v_add_f64 v[30:31], v[30:31], v[32:33]
	;; [unrolled: 2-line block ×3, first 2 shown]
	v_add_f64 v[0:1], v[0:1], v[24:25]
	v_fmac_f64_e32 v[12:13], s[10:11], v[30:31]
	v_fmac_f64_e32 v[20:21], s[10:11], v[30:31]
	v_fma_f64 v[6:7], -0.5, v[6:7], v[22:23]
	v_add_f64 v[30:31], v[36:37], -v[10:11]
	v_add_f64 v[0:1], v[0:1], v[10:11]
	v_fma_f64 v[10:11], s[14:15], v[30:31], v[6:7]
	v_add_f64 v[24:25], v[14:15], -v[24:25]
	v_add_f64 v[14:15], v[16:17], -v[18:19]
	;; [unrolled: 1-line block ×3, first 2 shown]
	v_fmac_f64_e32 v[6:7], s[4:5], v[30:31]
	v_fmac_f64_e32 v[10:11], s[16:17], v[24:25]
	v_add_f64 v[14:15], v[14:15], v[32:33]
	v_fmac_f64_e32 v[6:7], s[6:7], v[24:25]
	v_add_f64 v[2:3], v[22:23], v[16:17]
	v_fmac_f64_e32 v[10:11], s[10:11], v[14:15]
	v_fmac_f64_e32 v[6:7], s[10:11], v[14:15]
	v_add_f64 v[14:15], v[16:17], v[28:29]
	v_add_f64 v[2:3], v[2:3], v[18:19]
	v_fmac_f64_e32 v[22:23], -0.5, v[14:15]
	v_add_f64 v[2:3], v[2:3], v[26:27]
	v_fma_f64 v[14:15], s[4:5], v[24:25], v[22:23]
	v_add_f64 v[16:17], v[18:19], -v[16:17]
	v_add_f64 v[18:19], v[26:27], -v[28:29]
	v_fmac_f64_e32 v[22:23], s[14:15], v[24:25]
	v_add_f64 v[2:3], v[2:3], v[28:29]
	v_fmac_f64_e32 v[14:15], s[16:17], v[30:31]
	v_add_f64 v[16:17], v[16:17], v[18:19]
	v_fmac_f64_e32 v[22:23], s[6:7], v[30:31]
	v_fmac_f64_e32 v[14:15], s[10:11], v[16:17]
	;; [unrolled: 1-line block ×3, first 2 shown]
	ds_write_b128 v70, v[0:3]
	ds_write_b128 v70, v[8:11] offset:160
	ds_write_b128 v70, v[12:15] offset:320
	;; [unrolled: 1-line block ×4, first 2 shown]
	s_waitcnt lgkmcnt(0)
	s_barrier
	s_and_b64 exec, exec, vcc
	s_cbranch_execz .LBB0_15
; %bb.14:
	global_load_dwordx4 v[0:3], v67, s[8:9]
	global_load_dwordx4 v[4:7], v67, s[8:9] offset:80
	global_load_dwordx4 v[8:11], v67, s[8:9] offset:160
	;; [unrolled: 1-line block ×9, first 2 shown]
	v_mad_u64_u32 v[74:75], s[4:5], s2, v56, 0
	v_mad_u64_u32 v[76:77], s[6:7], s0, v66, 0
	v_lshl_add_u32 v88, v68, 4, v67
	v_mov_b32_e32 v68, v75
	v_mov_b32_e32 v78, v77
	v_mad_u64_u32 v[68:69], s[2:3], s3, v56, v[68:69]
	v_mov_b32_e32 v72, s12
	v_mov_b32_e32 v73, s13
	v_mad_u64_u32 v[66:67], s[2:3], s1, v66, v[78:79]
	v_mov_b32_e32 v75, v68
	v_mov_b32_e32 v77, v66
	v_lshl_add_u64 v[66:67], v[74:75], 4, v[72:73]
	v_mov_b32_e32 v89, 0x50
	v_lshl_add_u64 v[68:69], v[76:77], 4, v[66:67]
	s_mul_i32 s6, s1, 0x50
	ds_read_b128 v[40:43], v70
	ds_read_b128 v[44:47], v88 offset:80
	ds_read_b128 v[48:51], v88 offset:160
	;; [unrolled: 1-line block ×5, first 2 shown]
	v_mad_u64_u32 v[70:71], s[2:3], s0, v89, v[68:69]
	v_add_u32_e32 v71, s6, v71
	v_mad_u64_u32 v[72:73], s[2:3], s0, v89, v[70:71]
	v_add_u32_e32 v73, s6, v73
	s_mov_b32 s4, 0x47ae147b
	v_mad_u64_u32 v[74:75], s[2:3], s0, v89, v[72:73]
	s_mov_b32 s5, 0x3f947ae1
	v_add_u32_e32 v75, s6, v75
	v_mad_u64_u32 v[76:77], s[2:3], s0, v89, v[74:75]
	v_add_u32_e32 v77, s6, v77
	s_waitcnt vmcnt(9) lgkmcnt(5)
	v_mul_f64 v[78:79], v[42:43], v[2:3]
	v_mul_f64 v[2:3], v[40:41], v[2:3]
	s_waitcnt vmcnt(8) lgkmcnt(4)
	v_mul_f64 v[80:81], v[46:47], v[6:7]
	v_mul_f64 v[6:7], v[44:45], v[6:7]
	;; [unrolled: 3-line block ×5, first 2 shown]
	v_fmac_f64_e32 v[78:79], v[40:41], v[0:1]
	v_fma_f64 v[2:3], v[0:1], v[42:43], -v[2:3]
	v_fmac_f64_e32 v[80:81], v[44:45], v[4:5]
	v_fma_f64 v[6:7], v[4:5], v[46:47], -v[6:7]
	;; [unrolled: 2-line block ×5, first 2 shown]
	v_mul_f64 v[0:1], v[78:79], s[4:5]
	v_mul_f64 v[2:3], v[2:3], s[4:5]
	;; [unrolled: 1-line block ×10, first 2 shown]
	global_store_dwordx4 v[68:69], v[0:3], off
	global_store_dwordx4 v[70:71], v[4:7], off
	;; [unrolled: 1-line block ×5, first 2 shown]
	s_waitcnt vmcnt(9) lgkmcnt(0)
	v_mul_f64 v[0:1], v[64:65], v[22:23]
	v_mul_f64 v[2:3], v[62:63], v[22:23]
	ds_read_b128 v[4:7], v88 offset:480
	v_fmac_f64_e32 v[0:1], v[62:63], v[20:21]
	v_fma_f64 v[2:3], v[20:21], v[64:65], -v[2:3]
	v_mad_u64_u32 v[12:13], s[2:3], s0, v89, v[76:77]
	v_mul_f64 v[0:1], v[0:1], s[4:5]
	v_mul_f64 v[2:3], v[2:3], s[4:5]
	v_add_u32_e32 v13, s6, v13
	global_store_dwordx4 v[12:13], v[0:3], off
	ds_read_b128 v[0:3], v88 offset:560
	s_waitcnt vmcnt(9) lgkmcnt(1)
	v_mul_f64 v[8:9], v[6:7], v[26:27]
	v_fmac_f64_e32 v[8:9], v[4:5], v[24:25]
	v_mul_f64 v[4:5], v[4:5], v[26:27]
	v_fma_f64 v[4:5], v[24:25], v[6:7], -v[4:5]
	v_mul_f64 v[10:11], v[4:5], s[4:5]
	s_waitcnt vmcnt(8) lgkmcnt(0)
	v_mul_f64 v[4:5], v[2:3], v[30:31]
	v_fmac_f64_e32 v[4:5], v[0:1], v[28:29]
	v_mul_f64 v[0:1], v[0:1], v[30:31]
	v_fma_f64 v[0:1], v[28:29], v[2:3], -v[0:1]
	v_mul_f64 v[6:7], v[0:1], s[4:5]
	ds_read_b128 v[0:3], v88 offset:640
	v_mad_u64_u32 v[12:13], s[2:3], s0, v89, v[12:13]
	v_mul_f64 v[8:9], v[8:9], s[4:5]
	v_add_u32_e32 v13, s6, v13
	global_store_dwordx4 v[12:13], v[8:11], off
	v_mad_u64_u32 v[12:13], s[2:3], s0, v89, v[12:13]
	v_mul_f64 v[4:5], v[4:5], s[4:5]
	v_add_u32_e32 v13, s6, v13
	global_store_dwordx4 v[12:13], v[4:7], off
	ds_read_b128 v[4:7], v88 offset:720
	s_waitcnt vmcnt(9) lgkmcnt(1)
	v_mul_f64 v[8:9], v[2:3], v[34:35]
	v_fmac_f64_e32 v[8:9], v[0:1], v[32:33]
	v_mul_f64 v[0:1], v[0:1], v[34:35]
	v_fma_f64 v[0:1], v[32:33], v[2:3], -v[0:1]
	v_mul_f64 v[10:11], v[0:1], s[4:5]
	v_mad_u64_u32 v[0:1], s[2:3], s0, v57, 0
	v_mov_b32_e32 v2, v1
	v_mad_u64_u32 v[2:3], s[2:3], s1, v57, v[2:3]
	v_mov_b32_e32 v1, v2
	v_mul_f64 v[8:9], v[8:9], s[4:5]
	v_lshl_add_u64 v[0:1], v[0:1], 4, v[66:67]
	global_store_dwordx4 v[0:1], v[8:11], off
	s_waitcnt vmcnt(9) lgkmcnt(0)
	v_mul_f64 v[0:1], v[6:7], v[38:39]
	v_fmac_f64_e32 v[0:1], v[4:5], v[36:37]
	v_mul_f64 v[2:3], v[4:5], v[38:39]
	v_mov_b32_e32 v4, 0xa0
	v_fma_f64 v[2:3], v[36:37], v[6:7], -v[2:3]
	v_mad_u64_u32 v[4:5], s[2:3], s0, v4, v[12:13]
	s_mul_i32 s0, s1, 0xa0
	v_mul_f64 v[0:1], v[0:1], s[4:5]
	v_mul_f64 v[2:3], v[2:3], s[4:5]
	v_add_u32_e32 v5, s0, v5
	global_store_dwordx4 v[4:5], v[0:3], off
.LBB0_15:
	s_endpgm
	.section	.rodata,"a",@progbits
	.p2align	6, 0x0
	.amdhsa_kernel bluestein_single_fwd_len50_dim1_dp_op_CI_CI
		.amdhsa_group_segment_fixed_size 20000
		.amdhsa_private_segment_fixed_size 0
		.amdhsa_kernarg_size 104
		.amdhsa_user_sgpr_count 2
		.amdhsa_user_sgpr_dispatch_ptr 0
		.amdhsa_user_sgpr_queue_ptr 0
		.amdhsa_user_sgpr_kernarg_segment_ptr 1
		.amdhsa_user_sgpr_dispatch_id 0
		.amdhsa_user_sgpr_kernarg_preload_length 0
		.amdhsa_user_sgpr_kernarg_preload_offset 0
		.amdhsa_user_sgpr_private_segment_size 0
		.amdhsa_uses_dynamic_stack 0
		.amdhsa_enable_private_segment 0
		.amdhsa_system_sgpr_workgroup_id_x 1
		.amdhsa_system_sgpr_workgroup_id_y 0
		.amdhsa_system_sgpr_workgroup_id_z 0
		.amdhsa_system_sgpr_workgroup_info 0
		.amdhsa_system_vgpr_workitem_id 0
		.amdhsa_next_free_vgpr 110
		.amdhsa_next_free_sgpr 24
		.amdhsa_accum_offset 112
		.amdhsa_reserve_vcc 1
		.amdhsa_float_round_mode_32 0
		.amdhsa_float_round_mode_16_64 0
		.amdhsa_float_denorm_mode_32 3
		.amdhsa_float_denorm_mode_16_64 3
		.amdhsa_dx10_clamp 1
		.amdhsa_ieee_mode 1
		.amdhsa_fp16_overflow 0
		.amdhsa_tg_split 0
		.amdhsa_exception_fp_ieee_invalid_op 0
		.amdhsa_exception_fp_denorm_src 0
		.amdhsa_exception_fp_ieee_div_zero 0
		.amdhsa_exception_fp_ieee_overflow 0
		.amdhsa_exception_fp_ieee_underflow 0
		.amdhsa_exception_fp_ieee_inexact 0
		.amdhsa_exception_int_div_zero 0
	.end_amdhsa_kernel
	.text
.Lfunc_end0:
	.size	bluestein_single_fwd_len50_dim1_dp_op_CI_CI, .Lfunc_end0-bluestein_single_fwd_len50_dim1_dp_op_CI_CI
                                        ; -- End function
	.section	.AMDGPU.csdata,"",@progbits
; Kernel info:
; codeLenInByte = 6476
; NumSgprs: 30
; NumVgprs: 110
; NumAgprs: 0
; TotalNumVgprs: 110
; ScratchSize: 0
; MemoryBound: 0
; FloatMode: 240
; IeeeMode: 1
; LDSByteSize: 20000 bytes/workgroup (compile time only)
; SGPRBlocks: 3
; VGPRBlocks: 13
; NumSGPRsForWavesPerEU: 30
; NumVGPRsForWavesPerEU: 110
; AccumOffset: 112
; Occupancy: 4
; WaveLimiterHint : 1
; COMPUTE_PGM_RSRC2:SCRATCH_EN: 0
; COMPUTE_PGM_RSRC2:USER_SGPR: 2
; COMPUTE_PGM_RSRC2:TRAP_HANDLER: 0
; COMPUTE_PGM_RSRC2:TGID_X_EN: 1
; COMPUTE_PGM_RSRC2:TGID_Y_EN: 0
; COMPUTE_PGM_RSRC2:TGID_Z_EN: 0
; COMPUTE_PGM_RSRC2:TIDIG_COMP_CNT: 0
; COMPUTE_PGM_RSRC3_GFX90A:ACCUM_OFFSET: 27
; COMPUTE_PGM_RSRC3_GFX90A:TG_SPLIT: 0
	.text
	.p2alignl 6, 3212836864
	.fill 256, 4, 3212836864
	.type	__hip_cuid_2608e6ca346c60,@object ; @__hip_cuid_2608e6ca346c60
	.section	.bss,"aw",@nobits
	.globl	__hip_cuid_2608e6ca346c60
__hip_cuid_2608e6ca346c60:
	.byte	0                               ; 0x0
	.size	__hip_cuid_2608e6ca346c60, 1

	.ident	"AMD clang version 19.0.0git (https://github.com/RadeonOpenCompute/llvm-project roc-6.4.0 25133 c7fe45cf4b819c5991fe208aaa96edf142730f1d)"
	.section	".note.GNU-stack","",@progbits
	.addrsig
	.addrsig_sym __hip_cuid_2608e6ca346c60
	.amdgpu_metadata
---
amdhsa.kernels:
  - .agpr_count:     0
    .args:
      - .actual_access:  read_only
        .address_space:  global
        .offset:         0
        .size:           8
        .value_kind:     global_buffer
      - .actual_access:  read_only
        .address_space:  global
        .offset:         8
        .size:           8
        .value_kind:     global_buffer
      - .actual_access:  read_only
        .address_space:  global
        .offset:         16
        .size:           8
        .value_kind:     global_buffer
      - .actual_access:  read_only
        .address_space:  global
        .offset:         24
        .size:           8
        .value_kind:     global_buffer
      - .actual_access:  read_only
        .address_space:  global
        .offset:         32
        .size:           8
        .value_kind:     global_buffer
      - .offset:         40
        .size:           8
        .value_kind:     by_value
      - .address_space:  global
        .offset:         48
        .size:           8
        .value_kind:     global_buffer
      - .address_space:  global
        .offset:         56
        .size:           8
        .value_kind:     global_buffer
      - .address_space:  global
        .offset:         64
        .size:           8
        .value_kind:     global_buffer
      - .address_space:  global
        .offset:         72
        .size:           8
        .value_kind:     global_buffer
      - .offset:         80
        .size:           4
        .value_kind:     by_value
      - .address_space:  global
        .offset:         88
        .size:           8
        .value_kind:     global_buffer
      - .address_space:  global
        .offset:         96
        .size:           8
        .value_kind:     global_buffer
    .group_segment_fixed_size: 20000
    .kernarg_segment_align: 8
    .kernarg_segment_size: 104
    .language:       OpenCL C
    .language_version:
      - 2
      - 0
    .max_flat_workgroup_size: 250
    .name:           bluestein_single_fwd_len50_dim1_dp_op_CI_CI
    .private_segment_fixed_size: 0
    .sgpr_count:     30
    .sgpr_spill_count: 0
    .symbol:         bluestein_single_fwd_len50_dim1_dp_op_CI_CI.kd
    .uniform_work_group_size: 1
    .uses_dynamic_stack: false
    .vgpr_count:     110
    .vgpr_spill_count: 0
    .wavefront_size: 64
amdhsa.target:   amdgcn-amd-amdhsa--gfx950
amdhsa.version:
  - 1
  - 2
...

	.end_amdgpu_metadata
